;; amdgpu-corpus repo=ANL-CESAR/XSBench kind=compiled arch=gfx1250 opt=O3
	.amdgcn_target "amdgcn-amd-amdhsa--gfx1250"
	.amdhsa_code_object_version 6
	.text
	.protected	_Z25xs_lookup_kernel_baseline6Inputs14SimulationData ; -- Begin function _Z25xs_lookup_kernel_baseline6Inputs14SimulationData
	.globl	_Z25xs_lookup_kernel_baseline6Inputs14SimulationData
	.p2align	8
	.type	_Z25xs_lookup_kernel_baseline6Inputs14SimulationData,@function
_Z25xs_lookup_kernel_baseline6Inputs14SimulationData: ; @_Z25xs_lookup_kernel_baseline6Inputs14SimulationData
; %bb.0:
	s_clause 0x1
	s_load_b32 s2, s[0:1], 0xcc
	s_load_b32 s3, s[0:1], 0x18
	s_bfe_u32 s4, ttmp6, 0x4000c
	s_and_b32 s5, ttmp6, 15
	s_add_co_i32 s4, s4, 1
	s_getreg_b32 s6, hwreg(HW_REG_IB_STS2, 6, 4)
	s_mul_i32 s4, ttmp9, s4
	s_delay_alu instid0(SALU_CYCLE_1) | instskip(SKIP_4) | instid1(SALU_CYCLE_1)
	s_add_co_i32 s5, s5, s4
	s_wait_kmcnt 0x0
	s_and_b32 s2, s2, 0xffff
	s_cmp_eq_u32 s6, 0
	s_cselect_b32 s4, ttmp9, s5
	v_mad_u32 v30, s4, s2, v0
	s_mov_b32 s2, exec_lo
	s_delay_alu instid0(VALU_DEP_1)
	v_cmpx_gt_i32_e64 s3, v30
	s_cbranch_execz .LBB0_72
; %bb.1:
	s_clause 0x3
	s_load_b64 s[20:21], s[0:1], 0x28
	s_load_b256 s[4:11], s[0:1], 0x40
	s_load_b128 s[12:15], s[0:1], 0x60
	s_load_b64 s[2:3], s[0:1], 0x90
	v_mov_b64_e32 v[0:1], 0x45df23cb4a2bcaa7
	s_mov_b32 s22, exec_lo
	v_cmpx_ne_u32_e32 0, v30
	s_cbranch_execz .LBB0_7
; %bb.2:
	v_lshlrev_b32_e32 v2, 1, v30
	v_mov_b64_e32 v[0:1], 1
	v_mov_b64_e32 v[4:5], 0
	s_mov_b64 s[16:17], 0x26f19d38e48e2825
	s_mov_b32 s23, 0
	v_ashrrev_i32_e32 v3, 31, v2
	s_mov_b64 s[18:19], 1
	s_delay_alu instid0(VALU_DEP_1)
	v_and_b32_e32 v3, 0x7fffffff, v3
	s_branch .LBB0_4
.LBB0_3:                                ;   in Loop: Header=BB0_4 Depth=1
	s_or_b32 exec_lo, exec_lo, s24
	v_lshrrev_b64 v[6:7], 1, v[2:3]
	v_cmp_gt_u64_e32 vcc_lo, 2, v[2:3]
	s_add_nc_u64 s[24:25], s[16:17], 1
	s_mul_u64 s[16:17], s[16:17], s[16:17]
	s_mul_u64 s[18:19], s[24:25], s[18:19]
	s_delay_alu instid0(VALU_DEP_2) | instskip(SKIP_1) | instid1(SALU_CYCLE_1)
	v_mov_b64_e32 v[2:3], v[6:7]
	s_or_b32 s23, vcc_lo, s23
	s_and_not1_b32 exec_lo, exec_lo, s23
	s_cbranch_execz .LBB0_6
.LBB0_4:                                ; =>This Inner Loop Header: Depth=1
	s_delay_alu instid0(VALU_DEP_1) | instskip(SKIP_1) | instid1(VALU_DEP_1)
	v_and_b32_e32 v6, 1, v2
	s_mov_b32 s24, exec_lo
	v_cmpx_eq_u32_e32 1, v6
	s_cbranch_execz .LBB0_3
; %bb.5:                                ;   in Loop: Header=BB0_4 Depth=1
	v_mad_nc_u64_u32 v[6:7], s16, v4, s[18:19]
	v_mul_u64_e32 v[0:1], s[16:17], v[0:1]
	s_delay_alu instid0(VALU_DEP_2) | instskip(NEXT) | instid1(VALU_DEP_1)
	v_mad_u32 v4, s17, v4, v7
	v_mad_u32 v7, s16, v5, v4
	s_delay_alu instid0(VALU_DEP_1)
	v_mov_b64_e32 v[4:5], v[6:7]
	s_branch .LBB0_3
.LBB0_6:
	s_or_b32 exec_lo, exec_lo, s23
	v_mad_nc_u64_u32 v[2:3], 0x42e, v0, v[4:5]
	s_delay_alu instid0(VALU_DEP_1) | instskip(NEXT) | instid1(VALU_DEP_2)
	v_mad_u32 v3, 0x42e, v1, v3
	v_mad_nc_u64_u32 v[0:1], 0xe48e2825, v2, 1
	s_delay_alu instid0(VALU_DEP_1) | instskip(NEXT) | instid1(VALU_DEP_1)
	v_mad_u32 v1, 0xe48e2825, v3, v1
	v_mad_u32 v1, 0x26f19d38, v2, v1
	s_delay_alu instid0(VALU_DEP_1)
	v_and_b32_e32 v1, 0x7fffffff, v1
.LBB0_7:
	s_or_b32 exec_lo, exec_lo, s22
	s_delay_alu instid0(VALU_DEP_2)
	v_mad_nc_u64_u32 v[2:3], 0xe48e2825, v0, 1
	s_clause 0x1
	s_load_b128 s[16:19], s[0:1], 0x8
	s_load_b32 s23, s[0:1], 0x8c
	s_wait_xcnt 0x0
	s_mov_b64 s[0:1], 0x3faa9fbe76c8b439
	v_mov_b32_e32 v12, 1
	s_delay_alu instid0(VALU_DEP_2) | instskip(NEXT) | instid1(VALU_DEP_1)
	v_mad_u32 v3, 0xe48e2825, v1, v3
	v_mad_u32 v3, 0x26f19d38, v0, v3
	s_delay_alu instid0(VALU_DEP_1) | instskip(NEXT) | instid1(VALU_DEP_1)
	v_and_b32_e32 v3, 0x7fffffff, v3
	v_cvt_f64_u32_e32 v[4:5], v3
	v_cvt_f64_u32_e32 v[2:3], v2
	s_delay_alu instid0(VALU_DEP_2) | instskip(NEXT) | instid1(VALU_DEP_1)
	v_ldexp_f64 v[4:5], v[4:5], 32
	v_add_f64_e32 v[2:3], v[4:5], v[2:3]
	s_delay_alu instid0(VALU_DEP_1) | instskip(NEXT) | instid1(VALU_DEP_1)
	v_ldexp_f64 v[2:3], v[2:3], 0xffffffc1
	v_cmp_ngt_f64_e32 vcc_lo, s[0:1], v[2:3]
	s_and_saveexec_b32 s0, vcc_lo
	s_cbranch_execz .LBB0_29
; %bb.8:
	v_mov_b32_e32 v12, 2
	s_mov_b64 s[24:25], 0x3fd4ed916872b021
	s_mov_b32 s1, exec_lo
	v_cmpx_ngt_f64_e32 s[24:25], v[2:3]
	s_cbranch_execz .LBB0_28
; %bb.9:
	v_mov_b32_e32 v12, 3
	s_mov_b64 s[24:25], 0x3fdd810624dd2f1b
	s_mov_b32 s22, exec_lo
	v_cmpx_ngt_f64_e32 s[24:25], v[2:3]
	s_cbranch_execz .LBB0_27
; %bb.10:
	s_mov_b64 s[24:25], 0x3fe3ae147ae147af
	v_mov_b32_e32 v12, 4
	v_cmp_ngt_f64_e32 vcc_lo, s[24:25], v[2:3]
	s_and_saveexec_b32 s24, vcc_lo
	s_cbranch_execz .LBB0_26
; %bb.11:
	v_mov_b32_e32 v12, 5
	s_mov_b64 s[26:27], 0x3fe5ba5e353f7cee
	s_mov_b32 s25, exec_lo
	v_cmpx_ngt_f64_e32 s[26:27], v[2:3]
	s_cbranch_execz .LBB0_25
; %bb.12:
	s_mov_b64 s[26:27], 0x3fe7d70a3d70a3d8
	v_mov_b32_e32 v12, 6
	v_cmp_ngt_f64_e32 vcc_lo, s[26:27], v[2:3]
	s_and_saveexec_b32 s26, vcc_lo
	;; [unrolled: 12-line block ×4, first 2 shown]
	s_cbranch_execz .LBB0_20
; %bb.17:
	v_mov_b32_e32 v12, 11
	s_mov_b64 s[34:35], 0x3feb8d4fdf3b645b
	s_mov_b32 s31, exec_lo
	v_cmpx_ngt_f64_e32 s[34:35], v[2:3]
; %bb.18:
	v_mov_b32_e32 v12, 0
; %bb.19:
	s_or_b32 exec_lo, exec_lo, s31
.LBB0_20:
	s_delay_alu instid0(SALU_CYCLE_1)
	s_or_b32 exec_lo, exec_lo, s30
.LBB0_21:
	s_delay_alu instid0(SALU_CYCLE_1)
	s_or_b32 exec_lo, exec_lo, s29
.LBB0_22:
	s_delay_alu instid0(SALU_CYCLE_1)
	s_or_b32 exec_lo, exec_lo, s28
.LBB0_23:
	s_delay_alu instid0(SALU_CYCLE_1)
	s_or_b32 exec_lo, exec_lo, s27
.LBB0_24:
	s_delay_alu instid0(SALU_CYCLE_1)
	s_or_b32 exec_lo, exec_lo, s26
.LBB0_25:
	s_delay_alu instid0(SALU_CYCLE_1)
	s_or_b32 exec_lo, exec_lo, s25
.LBB0_26:
	s_delay_alu instid0(SALU_CYCLE_1)
	s_or_b32 exec_lo, exec_lo, s24
.LBB0_27:
	s_delay_alu instid0(SALU_CYCLE_1)
	s_or_b32 exec_lo, exec_lo, s22
.LBB0_28:
	s_delay_alu instid0(SALU_CYCLE_1)
	s_or_b32 exec_lo, exec_lo, s1
.LBB0_29:
	s_delay_alu instid0(SALU_CYCLE_1) | instskip(SKIP_4) | instid1(VALU_DEP_2)
	s_or_b32 exec_lo, exec_lo, s0
	v_cvt_f64_u32_e32 v[2:3], v1
	v_cvt_f64_u32_e32 v[0:1], v0
	s_wait_kmcnt 0x0
	s_cmp_lt_i32 s20, 2
	v_ldexp_f64 v[2:3], v[2:3], 32
	s_delay_alu instid0(VALU_DEP_1) | instskip(NEXT) | instid1(VALU_DEP_1)
	v_add_f64_e32 v[0:1], v[2:3], v[0:1]
	v_ldexp_f64 v[0:1], v[0:1], 0xffffffc1
	s_cbranch_scc1 .LBB0_33
; %bb.30:
	v_mov_b64_e32 v[14:15], -1
	s_cmp_eq_u32 s20, 2
	s_cbranch_scc0 .LBB0_32
; %bb.31:
	v_cvt_f64_i32_e32 v[2:3], s21
	s_delay_alu instid0(VALU_DEP_1) | instskip(SKIP_1) | instid1(VALU_DEP_2)
	v_div_scale_f64 v[4:5], null, v[2:3], v[2:3], 1.0
	v_div_scale_f64 v[10:11], vcc_lo, 1.0, v[2:3], 1.0
	v_rcp_f64_e32 v[6:7], v[4:5]
	v_nop
	s_delay_alu instid0(TRANS32_DEP_1) | instskip(NEXT) | instid1(VALU_DEP_1)
	v_fma_f64 v[8:9], -v[4:5], v[6:7], 1.0
	v_fmac_f64_e32 v[6:7], v[6:7], v[8:9]
	s_delay_alu instid0(VALU_DEP_1) | instskip(NEXT) | instid1(VALU_DEP_1)
	v_fma_f64 v[8:9], -v[4:5], v[6:7], 1.0
	v_fmac_f64_e32 v[6:7], v[6:7], v[8:9]
	s_delay_alu instid0(VALU_DEP_1) | instskip(NEXT) | instid1(VALU_DEP_1)
	v_mul_f64_e32 v[8:9], v[10:11], v[6:7]
	v_fma_f64 v[4:5], -v[4:5], v[8:9], v[10:11]
	s_delay_alu instid0(VALU_DEP_1) | instskip(NEXT) | instid1(VALU_DEP_1)
	v_div_fmas_f64 v[4:5], v[4:5], v[6:7], v[8:9]
	v_div_fixup_f64 v[2:3], v[4:5], v[2:3], 1.0
	s_delay_alu instid0(VALU_DEP_1) | instskip(SKIP_1) | instid1(VALU_DEP_2)
	v_div_scale_f64 v[4:5], null, v[2:3], v[2:3], v[0:1]
	v_div_scale_f64 v[10:11], vcc_lo, v[0:1], v[2:3], v[0:1]
	v_rcp_f64_e32 v[6:7], v[4:5]
	v_nop
	s_delay_alu instid0(TRANS32_DEP_1) | instskip(NEXT) | instid1(VALU_DEP_1)
	v_fma_f64 v[8:9], -v[4:5], v[6:7], 1.0
	v_fmac_f64_e32 v[6:7], v[6:7], v[8:9]
	s_delay_alu instid0(VALU_DEP_1) | instskip(NEXT) | instid1(VALU_DEP_1)
	v_fma_f64 v[8:9], -v[4:5], v[6:7], 1.0
	v_fmac_f64_e32 v[6:7], v[6:7], v[8:9]
	s_delay_alu instid0(VALU_DEP_1) | instskip(NEXT) | instid1(VALU_DEP_1)
	v_mul_f64_e32 v[8:9], v[10:11], v[6:7]
	v_fma_f64 v[4:5], -v[4:5], v[8:9], v[10:11]
	s_delay_alu instid0(VALU_DEP_1) | instskip(NEXT) | instid1(VALU_DEP_1)
	v_div_fmas_f64 v[4:5], v[4:5], v[6:7], v[8:9]
	v_div_fixup_f64 v[2:3], v[4:5], v[2:3], v[0:1]
	s_delay_alu instid0(VALU_DEP_1) | instskip(NEXT) | instid1(VALU_DEP_1)
	v_trunc_f64_e32 v[2:3], v[2:3]
	v_ldexp_f64 v[4:5], v[2:3], 0xffffffe0
	s_delay_alu instid0(VALU_DEP_1) | instskip(NEXT) | instid1(VALU_DEP_1)
	v_floor_f64_e32 v[4:5], v[4:5]
	v_fmamk_f64 v[2:3], v[4:5], 0xc1f00000, v[2:3]
	v_cvt_i32_f64_e32 v15, v[4:5]
	s_delay_alu instid0(VALU_DEP_2)
	v_cvt_u32_f64_e32 v14, v[2:3]
.LBB0_32:
	s_cbranch_execz .LBB0_34
	s_branch .LBB0_39
.LBB0_33:
                                        ; implicit-def: $vgpr14_vgpr15
.LBB0_34:
	v_mov_b64_e32 v[14:15], -1
	s_cmp_lg_u32 s20, 0
	s_cbranch_scc1 .LBB0_39
; %bb.35:
	s_mul_u64 s[0:1], s[18:19], s[16:17]
	v_mov_b64_e32 v[14:15], 0
	v_cmp_lt_i64_e64 s22, s[0:1], 3
	s_and_b32 vcc_lo, exec_lo, s22
	s_cbranch_vccnz .LBB0_39
; %bb.36:
	s_add_nc_u64 s[0:1], s[0:1], -1
	v_mov_b64_e32 v[14:15], 0
	v_mov_b64_e32 v[4:5], s[0:1]
	;; [unrolled: 1-line block ×3, first 2 shown]
	s_mov_b32 s0, 0
.LBB0_37:                               ; =>This Inner Loop Header: Depth=1
	s_delay_alu instid0(VALU_DEP_2) | instskip(NEXT) | instid1(VALU_DEP_1)
	v_lshrrev_b64 v[4:5], 1, v[4:5]
	v_add_nc_u64_e32 v[4:5], v[4:5], v[14:15]
	s_delay_alu instid0(VALU_DEP_1)
	v_lshl_add_u64 v[6:7], v[4:5], 3, s[10:11]
	global_load_b64 v[6:7], v[6:7], off
	s_wait_loadcnt 0x0
	v_cmp_gt_f64_e32 vcc_lo, v[6:7], v[0:1]
	v_dual_cndmask_b32 v3, v3, v5 :: v_dual_cndmask_b32 v2, v2, v4
	v_dual_cndmask_b32 v15, v5, v15 :: v_dual_cndmask_b32 v14, v4, v14
	s_delay_alu instid0(VALU_DEP_1) | instskip(NEXT) | instid1(VALU_DEP_1)
	v_sub_nc_u64_e32 v[4:5], v[2:3], v[14:15]
	v_cmp_gt_i64_e32 vcc_lo, 2, v[4:5]
	s_or_b32 s0, vcc_lo, s0
	s_delay_alu instid0(SALU_CYCLE_1)
	s_and_not1_b32 exec_lo, exec_lo, s0
	s_cbranch_execnz .LBB0_37
; %bb.38:
	s_or_b32 exec_lo, exec_lo, s0
.LBB0_39:
	global_load_b32 v31, v12, s[4:5] scale_offset
	v_mov_b64_e32 v[2:3], 0
	v_mov_b64_e32 v[4:5], 0
	;; [unrolled: 1-line block ×5, first 2 shown]
	s_mov_b32 s22, 0
	s_mov_b32 s1, exec_lo
	s_wait_loadcnt 0x0
	v_cmpx_lt_i32_e32 0, v31
	s_cbranch_execz .LBB0_71
; %bb.40:
	v_mul_u64_e32 v[8:9], s[16:17], v[14:15]
	v_mul_lo_u32 v32, v12, s23
	s_add_co_i32 s10, s21, -1
	v_mov_b64_e32 v[2:3], 0
	s_ashr_i32 s11, s10, 31
	v_mov_b64_e32 v[4:5], 0
	v_mov_b64_e32 v[6:7], 0
	;; [unrolled: 1-line block ×3, first 2 shown]
	v_cmp_ne_u64_e64 s0, s[10:11], v[14:15]
	s_mov_b64 s[4:5], 0xffffffffffffffa0
	s_add_nc_u64 s[10:11], s[18:19], -1
	v_lshl_add_u64 v[12:13], v[8:9], 2, s[12:13]
	v_mov_b64_e32 v[8:9], 0
	v_cmp_gt_i64_e64 s12, s[18:19], 2
	s_add_co_i32 s13, s18, -1
	v_lshl_add_u64 v[14:15], s[16:17], 2, v[12:13]
	s_mov_b32 s16, 0
	s_branch .LBB0_42
.LBB0_41:                               ;   in Loop: Header=BB0_42 Depth=1
	s_clause 0x5
	global_load_b128 v[18:21], v[22:23], off offset:48
	global_load_b128 v[24:27], v[22:23], off
	global_load_b128 v[34:37], v[22:23], off offset:32
	global_load_b128 v[38:41], v[22:23], off offset:16
	;; [unrolled: 1-line block ×4, first 2 shown]
	s_add_co_i32 s16, s16, 1
	s_wait_loadcnt 0x5
	v_add_f64_e64 v[28:29], v[18:19], -v[0:1]
	s_wait_loadcnt 0x4
	v_add_f64_e64 v[18:19], v[18:19], -v[24:25]
	s_wait_xcnt 0x0
	s_delay_alu instid0(VALU_DEP_1) | instskip(SKIP_1) | instid1(VALU_DEP_2)
	v_div_scale_f64 v[22:23], null, v[18:19], v[18:19], v[28:29]
	v_div_scale_f64 v[52:53], vcc_lo, v[28:29], v[18:19], v[28:29]
	v_rcp_f64_e32 v[24:25], v[22:23]
	v_nop
	s_delay_alu instid0(TRANS32_DEP_1) | instskip(NEXT) | instid1(VALU_DEP_1)
	v_fma_f64 v[50:51], -v[22:23], v[24:25], 1.0
	v_fmac_f64_e32 v[24:25], v[24:25], v[50:51]
	s_delay_alu instid0(VALU_DEP_1) | instskip(NEXT) | instid1(VALU_DEP_1)
	v_fma_f64 v[50:51], -v[22:23], v[24:25], 1.0
	v_fmac_f64_e32 v[24:25], v[24:25], v[50:51]
	s_delay_alu instid0(VALU_DEP_1) | instskip(NEXT) | instid1(VALU_DEP_1)
	v_mul_f64_e32 v[50:51], v[52:53], v[24:25]
	v_fma_f64 v[22:23], -v[22:23], v[50:51], v[52:53]
	s_delay_alu instid0(VALU_DEP_1)
	v_div_fmas_f64 v[22:23], v[22:23], v[24:25], v[50:51]
	v_add_f64_e64 v[24:25], v[20:21], -v[26:27]
	s_wait_loadcnt 0x1
	v_add_f64_e64 v[26:27], v[44:45], -v[40:41]
	v_cmp_eq_u32_e32 vcc_lo, s16, v31
	s_or_b32 s22, vcc_lo, s22
	s_delay_alu instid0(VALU_DEP_4) | instskip(SKIP_4) | instid1(VALU_DEP_4)
	v_div_fixup_f64 v[18:19], v[22:23], v[18:19], v[28:29]
	v_add_f64_e64 v[22:23], v[42:43], -v[38:39]
	s_wait_loadcnt 0x0
	v_add_f64_e64 v[28:29], v[46:47], -v[34:35]
	v_add_f64_e64 v[34:35], v[48:49], -v[36:37]
	v_fma_f64 v[20:21], -v[18:19], v[24:25], v[20:21]
	s_delay_alu instid0(VALU_DEP_4)
	v_fma_f64 v[22:23], -v[18:19], v[22:23], v[42:43]
	v_fma_f64 v[24:25], -v[18:19], v[26:27], v[44:45]
	;; [unrolled: 1-line block ×4, first 2 shown]
	v_fmac_f64_e32 v[10:11], v[16:17], v[20:21]
	v_fmac_f64_e32 v[8:9], v[16:17], v[22:23]
	;; [unrolled: 1-line block ×5, first 2 shown]
	s_and_not1_b32 exec_lo, exec_lo, s22
	s_cbranch_execz .LBB0_70
.LBB0_42:                               ; =>This Loop Header: Depth=1
                                        ;     Child Loop BB0_46 Depth 2
                                        ;     Child Loop BB0_64 Depth 2
	v_add_nc_u32_e32 v19, s16, v32
	s_mov_b32 s23, -1
	s_mov_b32 s17, 0
	s_cmp_lt_i32 s20, 1
	s_mov_b32 s21, 0
	s_clause 0x1
	global_load_b32 v18, v19, s[8:9] scale_offset
	global_load_b64 v[16:17], v19, s[6:7] scale_offset
                                        ; implicit-def: $vgpr22_vgpr23
	s_wait_loadcnt 0x1
	s_wait_xcnt 0x0
	v_ashrrev_i32_e32 v19, 31, v18
	s_cbranch_scc1 .LBB0_50
; %bb.43:                               ;   in Loop: Header=BB0_42 Depth=1
	s_cmp_eq_u32 s20, 1
	s_mov_b32 s21, -1
                                        ; implicit-def: $vgpr22_vgpr23
	s_cbranch_scc0 .LBB0_56
; %bb.44:                               ;   in Loop: Header=BB0_42 Depth=1
	v_mul_u64_e32 v[22:23], s[18:19], v[18:19]
	v_mov_b64_e32 v[24:25], 0
	s_and_not1_b32 vcc_lo, exec_lo, s12
	s_delay_alu instid0(VALU_DEP_2) | instskip(NEXT) | instid1(VALU_DEP_1)
	v_mad_nc_u64_u32 v[20:21], v22, 48, s[14:15]
	v_mad_u32 v21, v23, 48, v21
	s_cbranch_vccnz .LBB0_48
; %bb.45:                               ;   in Loop: Header=BB0_42 Depth=1
	v_mov_b64_e32 v[26:27], s[10:11]
	v_mov_b64_e32 v[24:25], 0
	;; [unrolled: 1-line block ×3, first 2 shown]
	s_mov_b32 s21, 0
.LBB0_46:                               ;   Parent Loop BB0_42 Depth=1
                                        ; =>  This Inner Loop Header: Depth=2
	s_delay_alu instid0(VALU_DEP_3) | instskip(NEXT) | instid1(VALU_DEP_1)
	v_lshrrev_b64 v[26:27], 1, v[26:27]
	v_add_nc_u64_e32 v[26:27], v[26:27], v[24:25]
	s_delay_alu instid0(VALU_DEP_1) | instskip(NEXT) | instid1(VALU_DEP_1)
	v_mad_nc_u64_u32 v[28:29], v26, 48, v[20:21]
	v_mad_u32 v29, v27, 48, v29
	global_load_b64 v[28:29], v[28:29], off
	s_wait_loadcnt 0x0
	v_cmp_gt_f64_e32 vcc_lo, v[28:29], v[0:1]
	v_dual_cndmask_b32 v23, v23, v27 :: v_dual_cndmask_b32 v22, v22, v26
	v_dual_cndmask_b32 v25, v27, v25 :: v_dual_cndmask_b32 v24, v26, v24
	s_delay_alu instid0(VALU_DEP_1) | instskip(NEXT) | instid1(VALU_DEP_1)
	v_sub_nc_u64_e32 v[26:27], v[22:23], v[24:25]
	v_cmp_gt_i64_e32 vcc_lo, 2, v[26:27]
	s_or_b32 s21, vcc_lo, s21
	s_delay_alu instid0(SALU_CYCLE_1)
	s_and_not1_b32 exec_lo, exec_lo, s21
	s_cbranch_execnz .LBB0_46
; %bb.47:                               ;   in Loop: Header=BB0_42 Depth=1
	s_or_b32 exec_lo, exec_lo, s21
.LBB0_48:                               ;   in Loop: Header=BB0_42 Depth=1
	s_delay_alu instid0(SALU_CYCLE_1) | instskip(NEXT) | instid1(VALU_DEP_3)
	s_mov_b32 s21, exec_lo
                                        ; implicit-def: $vgpr22_vgpr23
	v_cmpx_ne_u64_e64 s[10:11], v[24:25]
	s_xor_b32 s21, exec_lo, s21
	s_cbranch_execz .LBB0_53
; %bb.49:                               ;   in Loop: Header=BB0_42 Depth=1
	s_delay_alu instid0(VALU_DEP_2) | instskip(NEXT) | instid1(VALU_DEP_1)
	v_mad_nc_u64_u32 v[22:23], v24, 48, v[20:21]
                                        ; implicit-def: $vgpr20_vgpr21
	v_mad_u32 v23, v25, 48, v23
	s_and_not1_saveexec_b32 s21, s21
	s_cbranch_execnz .LBB0_54
	s_branch .LBB0_55
.LBB0_50:                               ;   in Loop: Header=BB0_42 Depth=1
	s_and_b32 vcc_lo, exec_lo, s23
	s_cbranch_vccz .LBB0_57
; %bb.51:                               ;   in Loop: Header=BB0_42 Depth=1
	s_cmp_lg_u32 s20, 0
	s_mov_b32 s17, -1
	s_cselect_b32 s21, -1, 0
	v_lshl_add_u64 v[20:21], v[18:19], 2, v[12:13]
	s_and_not1_b32 vcc_lo, exec_lo, s21
	s_cbranch_vccz .LBB0_58
.LBB0_52:                               ;   in Loop: Header=BB0_42 Depth=1
	s_and_b32 vcc_lo, exec_lo, s17
	s_cbranch_vccz .LBB0_41
	s_branch .LBB0_69
.LBB0_53:                               ;   in Loop: Header=BB0_42 Depth=1
	s_and_not1_saveexec_b32 s21, s21
.LBB0_54:                               ;   in Loop: Header=BB0_42 Depth=1
	s_delay_alu instid0(VALU_DEP_2) | instskip(NEXT) | instid1(VALU_DEP_1)
	v_mad_nc_u64_u32 v[20:21], s18, 48, v[20:21]
	v_mad_u32 v21, s19, 48, v21
	s_delay_alu instid0(VALU_DEP_1)
	v_add_nc_u64_e32 v[22:23], s[4:5], v[20:21]
.LBB0_55:                               ;   in Loop: Header=BB0_42 Depth=1
	s_or_b32 exec_lo, exec_lo, s21
	s_mov_b32 s21, 0
.LBB0_56:                               ;   in Loop: Header=BB0_42 Depth=1
.LBB0_57:                               ;   in Loop: Header=BB0_42 Depth=1
	s_delay_alu instid0(VALU_DEP_1)
	v_lshl_add_u64 v[20:21], v[18:19], 2, v[12:13]
	s_and_not1_b32 vcc_lo, exec_lo, s21
	s_cbranch_vccnz .LBB0_52
.LBB0_58:                               ;   in Loop: Header=BB0_42 Depth=1
	global_load_b32 v22, v[20:21], off
	v_mov_b32_e32 v26, s13
	s_wait_xcnt 0x0
	s_and_saveexec_b32 s17, s0
	s_cbranch_execz .LBB0_60
; %bb.59:                               ;   in Loop: Header=BB0_42 Depth=1
	v_lshl_add_u64 v[24:25], v[18:19], 2, v[14:15]
	global_load_b32 v23, v[24:25], off
	s_wait_loadcnt 0x0
	v_add_nc_u32_e32 v26, 1, v23
.LBB0_60:                               ;   in Loop: Header=BB0_42 Depth=1
	s_or_b32 exec_lo, exec_lo, s17
	v_mul_u64_e32 v[28:29], s[18:19], v[18:19]
	s_delay_alu instid0(VALU_DEP_1) | instskip(NEXT) | instid1(VALU_DEP_1)
	v_mad_nc_u64_u32 v[24:25], v28, 48, s[14:15]
	v_mad_u32 v25, v29, 48, v25
	s_wait_loadcnt 0x0
	s_delay_alu instid0(VALU_DEP_1)
	v_mad_nc_i64_i32 v[28:29], v22, 48, v[24:25]
	global_load_b64 v[28:29], v[28:29], off
	s_wait_loadcnt 0x0
	v_cmp_nle_f64_e32 vcc_lo, v[0:1], v[28:29]
	v_mov_b64_e32 v[28:29], 0
	s_and_saveexec_b32 s17, vcc_lo
	s_cbranch_execz .LBB0_68
; %bb.61:                               ;   in Loop: Header=BB0_42 Depth=1
	v_mad_nc_i64_i32 v[28:29], v26, 48, v[24:25]
	global_load_b64 v[28:29], v[28:29], off
	s_wait_loadcnt 0x0
	v_cmp_nge_f64_e32 vcc_lo, v[0:1], v[28:29]
	v_mov_b64_e32 v[28:29], s[10:11]
	s_and_saveexec_b32 s21, vcc_lo
	s_cbranch_execz .LBB0_67
; %bb.62:                               ;   in Loop: Header=BB0_42 Depth=1
	v_ashrrev_i32_e32 v23, 31, v22
	v_ashrrev_i32_e32 v27, 31, v26
	s_mov_b32 s23, exec_lo
	s_delay_alu instid0(VALU_DEP_1) | instskip(NEXT) | instid1(VALU_DEP_1)
	v_sub_nc_u64_e32 v[28:29], v[26:27], v[22:23]
	v_cmpx_lt_i64_e32 1, v[28:29]
	s_cbranch_execz .LBB0_66
; %bb.63:                               ;   in Loop: Header=BB0_42 Depth=1
	s_mov_b32 s24, 0
.LBB0_64:                               ;   Parent Loop BB0_42 Depth=1
                                        ; =>  This Inner Loop Header: Depth=2
	v_lshrrev_b64 v[28:29], 1, v[28:29]
	s_delay_alu instid0(VALU_DEP_1) | instskip(NEXT) | instid1(VALU_DEP_1)
	v_add_nc_u64_e32 v[28:29], v[28:29], v[22:23]
	v_mad_nc_u64_u32 v[34:35], v28, 48, v[24:25]
	s_delay_alu instid0(VALU_DEP_1)
	v_mad_u32 v35, v29, 48, v35
	global_load_b64 v[34:35], v[34:35], off
	s_wait_loadcnt 0x0
	v_cmp_gt_f64_e32 vcc_lo, v[34:35], v[0:1]
	v_dual_cndmask_b32 v27, v27, v29 :: v_dual_cndmask_b32 v26, v26, v28
	v_dual_cndmask_b32 v23, v29, v23 :: v_dual_cndmask_b32 v22, v28, v22
	s_delay_alu instid0(VALU_DEP_1) | instskip(NEXT) | instid1(VALU_DEP_1)
	v_sub_nc_u64_e32 v[28:29], v[26:27], v[22:23]
	v_cmp_gt_i64_e32 vcc_lo, 2, v[28:29]
	s_or_b32 s24, vcc_lo, s24
	s_delay_alu instid0(SALU_CYCLE_1)
	s_and_not1_b32 exec_lo, exec_lo, s24
	s_cbranch_execnz .LBB0_64
; %bb.65:                               ;   in Loop: Header=BB0_42 Depth=1
	s_or_b32 exec_lo, exec_lo, s24
.LBB0_66:                               ;   in Loop: Header=BB0_42 Depth=1
	s_delay_alu instid0(SALU_CYCLE_1)
	s_or_b32 exec_lo, exec_lo, s23
	v_mov_b64_e32 v[28:29], v[22:23]
.LBB0_67:                               ;   in Loop: Header=BB0_42 Depth=1
	s_or_b32 exec_lo, exec_lo, s21
.LBB0_68:                               ;   in Loop: Header=BB0_42 Depth=1
	s_delay_alu instid0(SALU_CYCLE_1) | instskip(NEXT) | instid1(VALU_DEP_1)
	s_or_b32 exec_lo, exec_lo, s17
	v_ashrrev_i32_e32 v29, 31, v28
	v_mad_nc_i64_i32 v[22:23], v28, 48, v[24:25]
	s_delay_alu instid0(VALU_DEP_2) | instskip(SKIP_2) | instid1(VALU_DEP_1)
	v_cmp_eq_u64_e32 vcc_lo, s[10:11], v[28:29]
	v_cndmask_b32_e64 v25, 0, -1, vcc_lo
	v_cndmask_b32_e64 v24, 0, 0xffffffd0, vcc_lo
	v_add_nc_u64_e32 v[22:23], v[22:23], v[24:25]
	s_branch .LBB0_41
.LBB0_69:                               ;   in Loop: Header=BB0_42 Depth=1
	global_load_b32 v20, v[20:21], off
	v_mul_u64_e32 v[18:19], s[18:19], v[18:19]
	s_delay_alu instid0(VALU_DEP_1) | instskip(NEXT) | instid1(VALU_DEP_1)
	v_mad_nc_u64_u32 v[22:23], v18, 48, s[14:15]
	v_mad_u32 v23, v19, 48, v23
	s_wait_loadcnt 0x0
	v_ashrrev_i32_e32 v21, 31, v20
	s_delay_alu instid0(VALU_DEP_2) | instskip(NEXT) | instid1(VALU_DEP_2)
	v_mad_nc_i64_i32 v[18:19], v20, 48, v[22:23]
	v_cmp_eq_u64_e32 vcc_lo, s[10:11], v[20:21]
	v_cndmask_b32_e64 v21, 0, -1, vcc_lo
	v_cndmask_b32_e64 v20, 0, 0xffffffd0, vcc_lo
	s_delay_alu instid0(VALU_DEP_1)
	v_add_nc_u64_e32 v[22:23], v[18:19], v[20:21]
	s_branch .LBB0_41
.LBB0_70:
	s_or_b32 exec_lo, exec_lo, s22
.LBB0_71:
	s_delay_alu instid0(SALU_CYCLE_1) | instskip(SKIP_1) | instid1(VALU_DEP_1)
	s_or_b32 exec_lo, exec_lo, s1
	v_max_num_f64_e32 v[0:1], v[10:11], v[10:11]
	v_max_num_f64_e32 v[0:1], -1.0, v[0:1]
	s_delay_alu instid0(VALU_DEP_1) | instskip(SKIP_1) | instid1(VALU_DEP_1)
	v_cmp_gt_f64_e32 vcc_lo, v[8:9], v[0:1]
	v_dual_cndmask_b32 v1, v1, v9 :: v_dual_cndmask_b32 v0, v0, v8
	v_cmp_gt_f64_e64 s0, v[6:7], v[0:1]
	s_delay_alu instid0(VALU_DEP_1) | instskip(SKIP_1) | instid1(VALU_DEP_2)
	v_dual_cndmask_b32 v1, v1, v7, s0 :: v_dual_cndmask_b32 v0, v0, v6, s0
	v_cndmask_b32_e64 v6, 1, 2, vcc_lo
	v_cmp_gt_f64_e64 s1, v[4:5], v[0:1]
	s_delay_alu instid0(VALU_DEP_2) | instskip(NEXT) | instid1(VALU_DEP_2)
	v_cndmask_b32_e64 v6, v6, 3, s0
	v_dual_cndmask_b32 v1, v1, v5, s1 :: v_dual_cndmask_b32 v0, v0, v4, s1
	s_delay_alu instid0(VALU_DEP_2) | instskip(NEXT) | instid1(VALU_DEP_2)
	v_cndmask_b32_e64 v4, v6, 4, s1
	v_cmp_ngt_f64_e32 vcc_lo, v[2:3], v[0:1]
	s_delay_alu instid0(VALU_DEP_2)
	v_dual_mov_b32 v1, 0 :: v_dual_cndmask_b32 v0, 5, v4
	global_store_b64 v30, v[0:1], s[2:3] scale_offset
.LBB0_72:
	s_endpgm
	.section	.rodata,"a",@progbits
	.p2align	6, 0x0
	.amdhsa_kernel _Z25xs_lookup_kernel_baseline6Inputs14SimulationData
		.amdhsa_group_segment_fixed_size 0
		.amdhsa_private_segment_fixed_size 0
		.amdhsa_kernarg_size 448
		.amdhsa_user_sgpr_count 2
		.amdhsa_user_sgpr_dispatch_ptr 0
		.amdhsa_user_sgpr_queue_ptr 0
		.amdhsa_user_sgpr_kernarg_segment_ptr 1
		.amdhsa_user_sgpr_dispatch_id 0
		.amdhsa_user_sgpr_kernarg_preload_length 0
		.amdhsa_user_sgpr_kernarg_preload_offset 0
		.amdhsa_user_sgpr_private_segment_size 0
		.amdhsa_wavefront_size32 1
		.amdhsa_uses_dynamic_stack 0
		.amdhsa_enable_private_segment 0
		.amdhsa_system_sgpr_workgroup_id_x 1
		.amdhsa_system_sgpr_workgroup_id_y 0
		.amdhsa_system_sgpr_workgroup_id_z 0
		.amdhsa_system_sgpr_workgroup_info 0
		.amdhsa_system_vgpr_workitem_id 0
		.amdhsa_next_free_vgpr 54
		.amdhsa_next_free_sgpr 36
		.amdhsa_named_barrier_count 0
		.amdhsa_reserve_vcc 1
		.amdhsa_float_round_mode_32 0
		.amdhsa_float_round_mode_16_64 0
		.amdhsa_float_denorm_mode_32 3
		.amdhsa_float_denorm_mode_16_64 3
		.amdhsa_fp16_overflow 0
		.amdhsa_memory_ordered 1
		.amdhsa_forward_progress 1
		.amdhsa_inst_pref_size 23
		.amdhsa_round_robin_scheduling 0
		.amdhsa_exception_fp_ieee_invalid_op 0
		.amdhsa_exception_fp_denorm_src 0
		.amdhsa_exception_fp_ieee_div_zero 0
		.amdhsa_exception_fp_ieee_overflow 0
		.amdhsa_exception_fp_ieee_underflow 0
		.amdhsa_exception_fp_ieee_inexact 0
		.amdhsa_exception_int_div_zero 0
	.end_amdhsa_kernel
	.text
.Lfunc_end0:
	.size	_Z25xs_lookup_kernel_baseline6Inputs14SimulationData, .Lfunc_end0-_Z25xs_lookup_kernel_baseline6Inputs14SimulationData
                                        ; -- End function
	.set _Z25xs_lookup_kernel_baseline6Inputs14SimulationData.num_vgpr, 54
	.set _Z25xs_lookup_kernel_baseline6Inputs14SimulationData.num_agpr, 0
	.set _Z25xs_lookup_kernel_baseline6Inputs14SimulationData.numbered_sgpr, 36
	.set _Z25xs_lookup_kernel_baseline6Inputs14SimulationData.num_named_barrier, 0
	.set _Z25xs_lookup_kernel_baseline6Inputs14SimulationData.private_seg_size, 0
	.set _Z25xs_lookup_kernel_baseline6Inputs14SimulationData.uses_vcc, 1
	.set _Z25xs_lookup_kernel_baseline6Inputs14SimulationData.uses_flat_scratch, 0
	.set _Z25xs_lookup_kernel_baseline6Inputs14SimulationData.has_dyn_sized_stack, 0
	.set _Z25xs_lookup_kernel_baseline6Inputs14SimulationData.has_recursion, 0
	.set _Z25xs_lookup_kernel_baseline6Inputs14SimulationData.has_indirect_call, 0
	.section	.AMDGPU.csdata,"",@progbits
; Kernel info:
; codeLenInByte = 2888
; TotalNumSgprs: 38
; NumVgprs: 54
; ScratchSize: 0
; MemoryBound: 0
; FloatMode: 240
; IeeeMode: 1
; LDSByteSize: 0 bytes/workgroup (compile time only)
; SGPRBlocks: 0
; VGPRBlocks: 3
; NumSGPRsForWavesPerEU: 38
; NumVGPRsForWavesPerEU: 54
; NamedBarCnt: 0
; Occupancy: 16
; WaveLimiterHint : 1
; COMPUTE_PGM_RSRC2:SCRATCH_EN: 0
; COMPUTE_PGM_RSRC2:USER_SGPR: 2
; COMPUTE_PGM_RSRC2:TRAP_HANDLER: 0
; COMPUTE_PGM_RSRC2:TGID_X_EN: 1
; COMPUTE_PGM_RSRC2:TGID_Y_EN: 0
; COMPUTE_PGM_RSRC2:TGID_Z_EN: 0
; COMPUTE_PGM_RSRC2:TIDIG_COMP_CNT: 0
	.text
	.p2alignl 7, 3214868480
	.fill 96, 4, 3214868480
	.section	.AMDGPU.gpr_maximums,"",@progbits
	.set amdgpu.max_num_vgpr, 0
	.set amdgpu.max_num_agpr, 0
	.set amdgpu.max_num_sgpr, 0
	.text
	.type	__hip_cuid_7260901bbda3bc90,@object ; @__hip_cuid_7260901bbda3bc90
	.section	.bss,"aw",@nobits
	.globl	__hip_cuid_7260901bbda3bc90
__hip_cuid_7260901bbda3bc90:
	.byte	0                               ; 0x0
	.size	__hip_cuid_7260901bbda3bc90, 1

	.ident	"AMD clang version 22.0.0git (https://github.com/RadeonOpenCompute/llvm-project roc-7.2.4 26084 f58b06dce1f9c15707c5f808fd002e18c2accf7e)"
	.section	".note.GNU-stack","",@progbits
	.addrsig
	.addrsig_sym __hip_cuid_7260901bbda3bc90
	.amdgpu_metadata
---
amdhsa.kernels:
  - .args:
      - .offset:         0
        .size:           64
        .value_kind:     by_value
      - .offset:         64
        .size:           128
        .value_kind:     by_value
      - .offset:         192
        .size:           4
        .value_kind:     hidden_block_count_x
      - .offset:         196
        .size:           4
        .value_kind:     hidden_block_count_y
      - .offset:         200
        .size:           4
        .value_kind:     hidden_block_count_z
      - .offset:         204
        .size:           2
        .value_kind:     hidden_group_size_x
      - .offset:         206
        .size:           2
        .value_kind:     hidden_group_size_y
      - .offset:         208
        .size:           2
        .value_kind:     hidden_group_size_z
      - .offset:         210
        .size:           2
        .value_kind:     hidden_remainder_x
      - .offset:         212
        .size:           2
        .value_kind:     hidden_remainder_y
      - .offset:         214
        .size:           2
        .value_kind:     hidden_remainder_z
      - .offset:         232
        .size:           8
        .value_kind:     hidden_global_offset_x
      - .offset:         240
        .size:           8
        .value_kind:     hidden_global_offset_y
      - .offset:         248
        .size:           8
        .value_kind:     hidden_global_offset_z
      - .offset:         256
        .size:           2
        .value_kind:     hidden_grid_dims
    .group_segment_fixed_size: 0
    .kernarg_segment_align: 8
    .kernarg_segment_size: 448
    .language:       OpenCL C
    .language_version:
      - 2
      - 0
    .max_flat_workgroup_size: 1024
    .name:           _Z25xs_lookup_kernel_baseline6Inputs14SimulationData
    .private_segment_fixed_size: 0
    .sgpr_count:     38
    .sgpr_spill_count: 0
    .symbol:         _Z25xs_lookup_kernel_baseline6Inputs14SimulationData.kd
    .uniform_work_group_size: 1
    .uses_dynamic_stack: false
    .vgpr_count:     54
    .vgpr_spill_count: 0
    .wavefront_size: 32
amdhsa.target:   amdgcn-amd-amdhsa--gfx1250
amdhsa.version:
  - 1
  - 2
...

	.end_amdgpu_metadata
